;; amdgpu-corpus repo=ROCm/rocFFT kind=compiled arch=gfx1100 opt=O3
	.text
	.amdgcn_target "amdgcn-amd-amdhsa--gfx1100"
	.amdhsa_code_object_version 6
	.protected	fft_rtc_fwd_len2048_factors_16_16_8_wgs_256_tpt_256_halfLds_sp_ip_CI_sbrr_dirReg ; -- Begin function fft_rtc_fwd_len2048_factors_16_16_8_wgs_256_tpt_256_halfLds_sp_ip_CI_sbrr_dirReg
	.globl	fft_rtc_fwd_len2048_factors_16_16_8_wgs_256_tpt_256_halfLds_sp_ip_CI_sbrr_dirReg
	.p2align	8
	.type	fft_rtc_fwd_len2048_factors_16_16_8_wgs_256_tpt_256_halfLds_sp_ip_CI_sbrr_dirReg,@function
fft_rtc_fwd_len2048_factors_16_16_8_wgs_256_tpt_256_halfLds_sp_ip_CI_sbrr_dirReg: ; @fft_rtc_fwd_len2048_factors_16_16_8_wgs_256_tpt_256_halfLds_sp_ip_CI_sbrr_dirReg
; %bb.0:
	s_clause 0x2
	s_load_b64 s[12:13], s[0:1], 0x18
	s_load_b128 s[4:7], s[0:1], 0x0
	s_load_b64 s[10:11], s[0:1], 0x50
	v_mov_b32_e32 v1, 0
	v_mov_b32_e32 v9, 0
	v_dual_mov_b32 v10, 0 :: v_dual_mov_b32 v3, s15
	s_delay_alu instid0(VALU_DEP_3) | instskip(SKIP_3) | instid1(VALU_DEP_1)
	v_mov_b32_e32 v4, v1
	s_waitcnt lgkmcnt(0)
	s_load_b64 s[8:9], s[12:13], 0x0
	v_cmp_lt_u64_e64 s2, s[6:7], 2
	s_and_b32 vcc_lo, exec_lo, s2
	s_cbranch_vccnz .LBB0_8
; %bb.1:
	s_load_b64 s[2:3], s[0:1], 0x10
	v_mov_b32_e32 v9, 0
	s_add_u32 s14, s12, 8
	v_mov_b32_e32 v10, 0
	s_addc_u32 s15, s13, 0
	s_mov_b64 s[18:19], 1
	s_waitcnt lgkmcnt(0)
	s_add_u32 s16, s2, 8
	s_addc_u32 s17, s3, 0
.LBB0_2:                                ; =>This Inner Loop Header: Depth=1
	s_load_b64 s[20:21], s[16:17], 0x0
                                        ; implicit-def: $vgpr22_vgpr23
	s_mov_b32 s2, exec_lo
	s_waitcnt lgkmcnt(0)
	v_or_b32_e32 v2, s21, v4
	s_delay_alu instid0(VALU_DEP_1)
	v_cmpx_ne_u64_e32 0, v[1:2]
	s_xor_b32 s3, exec_lo, s2
	s_cbranch_execz .LBB0_4
; %bb.3:                                ;   in Loop: Header=BB0_2 Depth=1
	v_cvt_f32_u32_e32 v2, s20
	v_cvt_f32_u32_e32 v5, s21
	s_sub_u32 s2, 0, s20
	s_subb_u32 s22, 0, s21
	s_delay_alu instid0(VALU_DEP_1) | instskip(NEXT) | instid1(VALU_DEP_1)
	v_fmac_f32_e32 v2, 0x4f800000, v5
	v_rcp_f32_e32 v2, v2
	s_waitcnt_depctr 0xfff
	v_mul_f32_e32 v2, 0x5f7ffffc, v2
	s_delay_alu instid0(VALU_DEP_1) | instskip(NEXT) | instid1(VALU_DEP_1)
	v_mul_f32_e32 v5, 0x2f800000, v2
	v_trunc_f32_e32 v5, v5
	s_delay_alu instid0(VALU_DEP_1) | instskip(SKIP_1) | instid1(VALU_DEP_2)
	v_fmac_f32_e32 v2, 0xcf800000, v5
	v_cvt_u32_f32_e32 v5, v5
	v_cvt_u32_f32_e32 v2, v2
	s_delay_alu instid0(VALU_DEP_2) | instskip(NEXT) | instid1(VALU_DEP_2)
	v_mul_lo_u32 v6, s2, v5
	v_mul_hi_u32 v7, s2, v2
	v_mul_lo_u32 v8, s22, v2
	s_delay_alu instid0(VALU_DEP_2) | instskip(SKIP_1) | instid1(VALU_DEP_2)
	v_add_nc_u32_e32 v6, v7, v6
	v_mul_lo_u32 v7, s2, v2
	v_add_nc_u32_e32 v6, v6, v8
	s_delay_alu instid0(VALU_DEP_2) | instskip(NEXT) | instid1(VALU_DEP_2)
	v_mul_hi_u32 v8, v2, v7
	v_mul_lo_u32 v11, v2, v6
	v_mul_hi_u32 v12, v2, v6
	v_mul_hi_u32 v13, v5, v7
	v_mul_lo_u32 v7, v5, v7
	v_mul_hi_u32 v14, v5, v6
	v_mul_lo_u32 v6, v5, v6
	v_add_co_u32 v8, vcc_lo, v8, v11
	v_add_co_ci_u32_e32 v11, vcc_lo, 0, v12, vcc_lo
	s_delay_alu instid0(VALU_DEP_2) | instskip(NEXT) | instid1(VALU_DEP_2)
	v_add_co_u32 v7, vcc_lo, v8, v7
	v_add_co_ci_u32_e32 v7, vcc_lo, v11, v13, vcc_lo
	v_add_co_ci_u32_e32 v8, vcc_lo, 0, v14, vcc_lo
	s_delay_alu instid0(VALU_DEP_2) | instskip(NEXT) | instid1(VALU_DEP_2)
	v_add_co_u32 v6, vcc_lo, v7, v6
	v_add_co_ci_u32_e32 v7, vcc_lo, 0, v8, vcc_lo
	s_delay_alu instid0(VALU_DEP_2) | instskip(NEXT) | instid1(VALU_DEP_2)
	v_add_co_u32 v2, vcc_lo, v2, v6
	v_add_co_ci_u32_e32 v5, vcc_lo, v5, v7, vcc_lo
	s_delay_alu instid0(VALU_DEP_2) | instskip(SKIP_1) | instid1(VALU_DEP_3)
	v_mul_hi_u32 v6, s2, v2
	v_mul_lo_u32 v8, s22, v2
	v_mul_lo_u32 v7, s2, v5
	s_delay_alu instid0(VALU_DEP_1) | instskip(SKIP_1) | instid1(VALU_DEP_2)
	v_add_nc_u32_e32 v6, v6, v7
	v_mul_lo_u32 v7, s2, v2
	v_add_nc_u32_e32 v6, v6, v8
	s_delay_alu instid0(VALU_DEP_2) | instskip(NEXT) | instid1(VALU_DEP_2)
	v_mul_hi_u32 v8, v2, v7
	v_mul_lo_u32 v11, v2, v6
	v_mul_hi_u32 v12, v2, v6
	v_mul_hi_u32 v13, v5, v7
	v_mul_lo_u32 v7, v5, v7
	v_mul_hi_u32 v14, v5, v6
	v_mul_lo_u32 v6, v5, v6
	v_add_co_u32 v8, vcc_lo, v8, v11
	v_add_co_ci_u32_e32 v11, vcc_lo, 0, v12, vcc_lo
	s_delay_alu instid0(VALU_DEP_2) | instskip(NEXT) | instid1(VALU_DEP_2)
	v_add_co_u32 v7, vcc_lo, v8, v7
	v_add_co_ci_u32_e32 v7, vcc_lo, v11, v13, vcc_lo
	v_add_co_ci_u32_e32 v8, vcc_lo, 0, v14, vcc_lo
	s_delay_alu instid0(VALU_DEP_2) | instskip(NEXT) | instid1(VALU_DEP_2)
	v_add_co_u32 v6, vcc_lo, v7, v6
	v_add_co_ci_u32_e32 v7, vcc_lo, 0, v8, vcc_lo
	s_delay_alu instid0(VALU_DEP_2) | instskip(NEXT) | instid1(VALU_DEP_2)
	v_add_co_u32 v2, vcc_lo, v2, v6
	v_add_co_ci_u32_e32 v13, vcc_lo, v5, v7, vcc_lo
	s_delay_alu instid0(VALU_DEP_2) | instskip(SKIP_1) | instid1(VALU_DEP_3)
	v_mul_hi_u32 v14, v3, v2
	v_mad_u64_u32 v[7:8], null, v4, v2, 0
	v_mad_u64_u32 v[5:6], null, v3, v13, 0
	;; [unrolled: 1-line block ×3, first 2 shown]
	s_delay_alu instid0(VALU_DEP_2) | instskip(NEXT) | instid1(VALU_DEP_3)
	v_add_co_u32 v2, vcc_lo, v14, v5
	v_add_co_ci_u32_e32 v5, vcc_lo, 0, v6, vcc_lo
	s_delay_alu instid0(VALU_DEP_2) | instskip(NEXT) | instid1(VALU_DEP_2)
	v_add_co_u32 v2, vcc_lo, v2, v7
	v_add_co_ci_u32_e32 v2, vcc_lo, v5, v8, vcc_lo
	v_add_co_ci_u32_e32 v5, vcc_lo, 0, v12, vcc_lo
	s_delay_alu instid0(VALU_DEP_2) | instskip(NEXT) | instid1(VALU_DEP_2)
	v_add_co_u32 v2, vcc_lo, v2, v11
	v_add_co_ci_u32_e32 v7, vcc_lo, 0, v5, vcc_lo
	s_delay_alu instid0(VALU_DEP_2) | instskip(SKIP_1) | instid1(VALU_DEP_3)
	v_mul_lo_u32 v8, s21, v2
	v_mad_u64_u32 v[5:6], null, s20, v2, 0
	v_mul_lo_u32 v11, s20, v7
	s_delay_alu instid0(VALU_DEP_2) | instskip(NEXT) | instid1(VALU_DEP_2)
	v_sub_co_u32 v5, vcc_lo, v3, v5
	v_add3_u32 v6, v6, v11, v8
	s_delay_alu instid0(VALU_DEP_1) | instskip(NEXT) | instid1(VALU_DEP_1)
	v_sub_nc_u32_e32 v8, v4, v6
	v_subrev_co_ci_u32_e64 v8, s2, s21, v8, vcc_lo
	v_add_co_u32 v11, s2, v2, 2
	s_delay_alu instid0(VALU_DEP_1) | instskip(SKIP_3) | instid1(VALU_DEP_3)
	v_add_co_ci_u32_e64 v12, s2, 0, v7, s2
	v_sub_co_u32 v13, s2, v5, s20
	v_sub_co_ci_u32_e32 v6, vcc_lo, v4, v6, vcc_lo
	v_subrev_co_ci_u32_e64 v8, s2, 0, v8, s2
	v_cmp_le_u32_e32 vcc_lo, s20, v13
	s_delay_alu instid0(VALU_DEP_3) | instskip(SKIP_1) | instid1(VALU_DEP_4)
	v_cmp_eq_u32_e64 s2, s21, v6
	v_cndmask_b32_e64 v13, 0, -1, vcc_lo
	v_cmp_le_u32_e32 vcc_lo, s21, v8
	v_cndmask_b32_e64 v14, 0, -1, vcc_lo
	v_cmp_le_u32_e32 vcc_lo, s20, v5
	;; [unrolled: 2-line block ×3, first 2 shown]
	v_cndmask_b32_e64 v15, 0, -1, vcc_lo
	v_cmp_eq_u32_e32 vcc_lo, s21, v8
	s_delay_alu instid0(VALU_DEP_2) | instskip(SKIP_3) | instid1(VALU_DEP_3)
	v_cndmask_b32_e64 v5, v15, v5, s2
	v_cndmask_b32_e32 v8, v14, v13, vcc_lo
	v_add_co_u32 v13, vcc_lo, v2, 1
	v_add_co_ci_u32_e32 v14, vcc_lo, 0, v7, vcc_lo
	v_cmp_ne_u32_e32 vcc_lo, 0, v8
	s_delay_alu instid0(VALU_DEP_2) | instskip(NEXT) | instid1(VALU_DEP_4)
	v_cndmask_b32_e32 v6, v14, v12, vcc_lo
	v_cndmask_b32_e32 v8, v13, v11, vcc_lo
	v_cmp_ne_u32_e32 vcc_lo, 0, v5
	s_delay_alu instid0(VALU_DEP_2)
	v_dual_cndmask_b32 v23, v7, v6 :: v_dual_cndmask_b32 v22, v2, v8
.LBB0_4:                                ;   in Loop: Header=BB0_2 Depth=1
	s_and_not1_saveexec_b32 s2, s3
	s_cbranch_execz .LBB0_6
; %bb.5:                                ;   in Loop: Header=BB0_2 Depth=1
	v_cvt_f32_u32_e32 v2, s20
	s_sub_i32 s3, 0, s20
	v_mov_b32_e32 v23, v1
	s_delay_alu instid0(VALU_DEP_2) | instskip(SKIP_2) | instid1(VALU_DEP_1)
	v_rcp_iflag_f32_e32 v2, v2
	s_waitcnt_depctr 0xfff
	v_mul_f32_e32 v2, 0x4f7ffffe, v2
	v_cvt_u32_f32_e32 v2, v2
	s_delay_alu instid0(VALU_DEP_1) | instskip(NEXT) | instid1(VALU_DEP_1)
	v_mul_lo_u32 v5, s3, v2
	v_mul_hi_u32 v5, v2, v5
	s_delay_alu instid0(VALU_DEP_1) | instskip(NEXT) | instid1(VALU_DEP_1)
	v_add_nc_u32_e32 v2, v2, v5
	v_mul_hi_u32 v2, v3, v2
	s_delay_alu instid0(VALU_DEP_1) | instskip(SKIP_1) | instid1(VALU_DEP_2)
	v_mul_lo_u32 v5, v2, s20
	v_add_nc_u32_e32 v6, 1, v2
	v_sub_nc_u32_e32 v5, v3, v5
	s_delay_alu instid0(VALU_DEP_1) | instskip(SKIP_1) | instid1(VALU_DEP_2)
	v_subrev_nc_u32_e32 v7, s20, v5
	v_cmp_le_u32_e32 vcc_lo, s20, v5
	v_dual_cndmask_b32 v5, v5, v7 :: v_dual_cndmask_b32 v2, v2, v6
	s_delay_alu instid0(VALU_DEP_1) | instskip(NEXT) | instid1(VALU_DEP_2)
	v_cmp_le_u32_e32 vcc_lo, s20, v5
	v_add_nc_u32_e32 v6, 1, v2
	s_delay_alu instid0(VALU_DEP_1)
	v_cndmask_b32_e32 v22, v2, v6, vcc_lo
.LBB0_6:                                ;   in Loop: Header=BB0_2 Depth=1
	s_or_b32 exec_lo, exec_lo, s2
	s_load_b64 s[2:3], s[14:15], 0x0
	v_mul_lo_u32 v2, v23, s20
	s_delay_alu instid0(VALU_DEP_2)
	v_mul_lo_u32 v7, v22, s21
	v_mad_u64_u32 v[5:6], null, v22, s20, 0
	s_add_u32 s18, s18, 1
	s_addc_u32 s19, s19, 0
	s_add_u32 s14, s14, 8
	s_addc_u32 s15, s15, 0
	;; [unrolled: 2-line block ×3, first 2 shown]
	s_delay_alu instid0(VALU_DEP_1) | instskip(SKIP_1) | instid1(VALU_DEP_2)
	v_add3_u32 v2, v6, v7, v2
	v_sub_co_u32 v5, vcc_lo, v3, v5
	v_sub_co_ci_u32_e32 v2, vcc_lo, v4, v2, vcc_lo
	s_waitcnt lgkmcnt(0)
	s_delay_alu instid0(VALU_DEP_2) | instskip(NEXT) | instid1(VALU_DEP_2)
	v_mul_lo_u32 v6, s3, v5
	v_mul_lo_u32 v4, s2, v2
	v_mad_u64_u32 v[2:3], null, s2, v5, v[9:10]
	v_cmp_ge_u64_e64 s2, s[18:19], s[6:7]
	s_delay_alu instid0(VALU_DEP_1) | instskip(NEXT) | instid1(VALU_DEP_2)
	s_and_b32 vcc_lo, exec_lo, s2
	v_add3_u32 v10, v6, v3, v4
	s_delay_alu instid0(VALU_DEP_3)
	v_mov_b32_e32 v9, v2
	s_cbranch_vccnz .LBB0_9
; %bb.7:                                ;   in Loop: Header=BB0_2 Depth=1
	v_dual_mov_b32 v3, v22 :: v_dual_mov_b32 v4, v23
	s_branch .LBB0_2
.LBB0_8:
	v_dual_mov_b32 v23, v4 :: v_dual_mov_b32 v22, v3
.LBB0_9:
	s_lshl_b64 s[2:3], s[6:7], 3
	v_dual_mov_b32 v2, 0 :: v_dual_mov_b32 v39, 0
	s_add_u32 s2, s12, s2
	s_addc_u32 s3, s13, s3
	s_load_b64 s[2:3], s[2:3], 0x0
	s_load_b64 s[0:1], s[0:1], 0x20
	v_dual_mov_b32 v1, 0 :: v_dual_mov_b32 v12, 0
	v_dual_mov_b32 v13, 0 :: v_dual_mov_b32 v14, 0
	;; [unrolled: 1-line block ×6, first 2 shown]
	v_mov_b32_e32 v21, 0
	v_mov_b32_e32 v17, 0
                                        ; implicit-def: $vgpr27
                                        ; implicit-def: $vgpr31
                                        ; implicit-def: $vgpr35
                                        ; implicit-def: $vgpr29
                                        ; implicit-def: $vgpr33
                                        ; implicit-def: $vgpr25
	s_waitcnt lgkmcnt(0)
	v_mul_lo_u32 v11, s2, v23
	v_mul_lo_u32 v16, s3, v22
	v_mad_u64_u32 v[5:6], null, s2, v22, v[9:10]
	v_cmp_gt_u64_e32 vcc_lo, s[0:1], v[22:23]
                                        ; implicit-def: $vgpr23
	s_delay_alu instid0(VALU_DEP_2)
	v_add3_u32 v6, v16, v6, v11
	v_mov_b32_e32 v16, 0
                                        ; implicit-def: $vgpr11
	s_and_saveexec_b32 s1, vcc_lo
	s_cbranch_execz .LBB0_13
; %bb.10:
	v_cmp_gt_u32_e64 s0, 0x80, v0
	v_dual_mov_b32 v16, 0 :: v_dual_mov_b32 v17, 0
	v_dual_mov_b32 v20, 0 :: v_dual_mov_b32 v21, 0
	;; [unrolled: 1-line block ×8, first 2 shown]
                                        ; implicit-def: $vgpr24
                                        ; implicit-def: $vgpr32
                                        ; implicit-def: $vgpr28
                                        ; implicit-def: $vgpr34
                                        ; implicit-def: $vgpr22
                                        ; implicit-def: $vgpr30
                                        ; implicit-def: $vgpr26
                                        ; implicit-def: $vgpr10
	s_and_saveexec_b32 s2, s0
	s_cbranch_execz .LBB0_12
; %bb.11:
	v_or_b32_e32 v16, 0x80, v0
	v_mad_u64_u32 v[1:2], null, s8, v0, 0
	v_or_b32_e32 v17, 0x100, v0
	v_or_b32_e32 v18, 0x180, v0
	s_delay_alu instid0(VALU_DEP_4) | instskip(SKIP_1) | instid1(VALU_DEP_4)
	v_mad_u64_u32 v[3:4], null, s8, v16, 0
	v_lshlrev_b64 v[7:8], 3, v[5:6]
	v_mad_u64_u32 v[9:10], null, s8, v17, 0
	v_or_b32_e32 v19, 0x200, v0
	v_or_b32_e32 v24, 0x280, v0
	;; [unrolled: 1-line block ×3, first 2 shown]
	v_mad_u64_u32 v[11:12], null, s9, v0, v[2:3]
	v_mad_u64_u32 v[12:13], null, s8, v18, 0
	v_add_co_u32 v42, s0, s10, v7
	s_delay_alu instid0(VALU_DEP_1) | instskip(NEXT) | instid1(VALU_DEP_4)
	v_add_co_ci_u32_e64 v43, s0, s11, v8, s0
	v_mad_u64_u32 v[7:8], null, s9, v17, v[10:11]
	v_mov_b32_e32 v2, v4
	v_mov_b32_e32 v8, v13
	v_or_b32_e32 v26, 0x380, v0
	v_or_b32_e32 v27, 0x400, v0
	v_or_b32_e32 v32, 0x480, v0
	v_mad_u64_u32 v[14:15], null, s9, v16, v[2:3]
	v_mad_u64_u32 v[16:17], null, s9, v18, v[8:9]
	v_mov_b32_e32 v2, v11
	v_mov_b32_e32 v10, v7
	v_or_b32_e32 v33, 0x500, v0
	v_or_b32_e32 v34, 0x580, v0
	;; [unrolled: 1-line block ×4, first 2 shown]
	v_mov_b32_e32 v13, v16
	v_mad_u64_u32 v[16:17], null, s8, v24, 0
	v_mov_b32_e32 v4, v14
	v_mad_u64_u32 v[14:15], null, s8, v19, 0
	v_lshlrev_b64 v[1:2], 3, v[1:2]
	v_lshlrev_b64 v[8:9], 3, v[9:10]
	s_delay_alu instid0(VALU_DEP_4) | instskip(SKIP_4) | instid1(VALU_DEP_1)
	v_lshlrev_b64 v[3:4], 3, v[3:4]
	v_mad_u64_u32 v[28:29], null, s8, v33, 0
	v_or_b32_e32 v44, 0x780, v0
	v_mov_b32_e32 v7, v15
	v_add_co_u32 v1, s0, v42, v1
	v_add_co_ci_u32_e64 v2, s0, v43, v2, s0
	s_delay_alu instid0(VALU_DEP_3)
	v_mad_u64_u32 v[10:11], null, s9, v19, v[7:8]
	v_add_co_u32 v3, s0, v42, v3
	v_lshlrev_b64 v[11:12], 3, v[12:13]
	v_mad_u64_u32 v[18:19], null, s8, v25, 0
	v_add_co_ci_u32_e64 v4, s0, v43, v4, s0
	v_add_co_u32 v7, s0, v42, v8
	s_delay_alu instid0(VALU_DEP_1)
	v_add_co_ci_u32_e64 v8, s0, v43, v9, s0
	v_add_co_u32 v9, s0, v42, v11
	v_mov_b32_e32 v11, v17
	v_mov_b32_e32 v15, v10
	v_add_co_ci_u32_e64 v10, s0, v43, v12, s0
	v_mov_b32_e32 v12, v19
	s_delay_alu instid0(VALU_DEP_3) | instskip(NEXT) | instid1(VALU_DEP_2)
	v_lshlrev_b64 v[20:21], 3, v[14:15]
	v_mad_u64_u32 v[22:23], null, s9, v24, v[11:12]
	v_mad_u64_u32 v[23:24], null, s9, v25, v[12:13]
	s_clause 0x3
	global_load_b64 v[1:2], v[1:2], off
	global_load_b64 v[12:13], v[3:4], off
	;; [unrolled: 1-line block ×4, first 2 shown]
	v_mad_u64_u32 v[24:25], null, s8, v26, 0
	v_add_co_u32 v3, s0, v42, v20
	v_mov_b32_e32 v17, v22
	v_mov_b32_e32 v19, v23
	v_mad_u64_u32 v[22:23], null, s8, v27, 0
	v_mov_b32_e32 v9, v25
	s_delay_alu instid0(VALU_DEP_4) | instskip(SKIP_1) | instid1(VALU_DEP_2)
	v_lshlrev_b64 v[10:11], 3, v[16:17]
	v_add_co_ci_u32_e64 v4, s0, v43, v21, s0
	v_mad_u64_u32 v[16:17], null, s9, v26, v[9:10]
	v_lshlrev_b64 v[17:18], 3, v[18:19]
	v_add_co_u32 v9, s0, v42, v10
	s_delay_alu instid0(VALU_DEP_1) | instskip(SKIP_3) | instid1(VALU_DEP_1)
	v_add_co_ci_u32_e64 v10, s0, v43, v11, s0
	v_mov_b32_e32 v11, v23
	v_mov_b32_e32 v25, v16
	v_add_co_u32 v16, s0, v42, v17
	v_add_co_ci_u32_e64 v17, s0, v43, v18, s0
	s_delay_alu instid0(VALU_DEP_3) | instskip(SKIP_1) | instid1(VALU_DEP_2)
	v_lshlrev_b64 v[18:19], 3, v[24:25]
	v_mad_u64_u32 v[24:25], null, s8, v32, 0
	v_add_co_u32 v26, s0, v42, v18
	s_waitcnt vmcnt(2)
	v_mad_u64_u32 v[20:21], null, s9, v27, v[11:12]
	s_delay_alu instid0(VALU_DEP_3) | instskip(SKIP_1) | instid1(VALU_DEP_2)
	v_mov_b32_e32 v11, v25
	v_add_co_ci_u32_e64 v27, s0, v43, v19, s0
	v_mad_u64_u32 v[30:31], null, s9, v32, v[11:12]
	s_delay_alu instid0(VALU_DEP_4)
	v_mov_b32_e32 v23, v20
	s_clause 0x3
	global_load_b64 v[3:4], v[3:4], off
	global_load_b64 v[18:19], v[9:10], off
	;; [unrolled: 1-line block ×4, first 2 shown]
	v_mad_u64_u32 v[26:27], null, s8, v34, 0
	v_mov_b32_e32 v9, v29
	v_lshlrev_b64 v[10:11], 3, v[22:23]
	v_mov_b32_e32 v25, v30
	v_mad_u64_u32 v[30:31], null, s8, v35, 0
	s_delay_alu instid0(VALU_DEP_3) | instskip(SKIP_1) | instid1(VALU_DEP_1)
	v_mad_u64_u32 v[22:23], null, s9, v33, v[9:10]
	v_add_co_u32 v9, s0, v42, v10
	v_add_co_ci_u32_e64 v10, s0, v43, v11, s0
	v_mov_b32_e32 v11, v27
	v_lshlrev_b64 v[23:24], 3, v[24:25]
	v_mov_b32_e32 v29, v22
	s_delay_alu instid0(VALU_DEP_3) | instskip(SKIP_3) | instid1(VALU_DEP_1)
	v_mad_u64_u32 v[32:33], null, s9, v34, v[11:12]
	v_mad_u64_u32 v[33:34], null, s8, v39, 0
	v_mov_b32_e32 v11, v31
	v_add_co_u32 v22, s0, v42, v23
	v_add_co_ci_u32_e64 v23, s0, v43, v24, s0
	v_mov_b32_e32 v27, v32
	v_or_b32_e32 v32, 0x700, v0
	v_lshlrev_b64 v[24:25], 3, v[28:29]
	v_mad_u64_u32 v[28:29], null, s9, v35, v[11:12]
	v_mov_b32_e32 v11, v34
	s_delay_alu instid0(VALU_DEP_4) | instskip(SKIP_2) | instid1(VALU_DEP_4)
	v_mad_u64_u32 v[35:36], null, s8, v32, 0
	v_lshlrev_b64 v[26:27], 3, v[26:27]
	v_add_co_u32 v24, s0, v42, v24
	v_mad_u64_u32 v[37:38], null, s9, v39, v[11:12]
	v_mad_u64_u32 v[38:39], null, s8, v44, 0
	v_mov_b32_e32 v11, v36
	v_mov_b32_e32 v31, v28
	v_add_co_ci_u32_e64 v25, s0, v43, v25, s0
	v_add_co_u32 v40, s0, v42, v26
	s_delay_alu instid0(VALU_DEP_4) | instskip(SKIP_3) | instid1(VALU_DEP_3)
	v_mad_u64_u32 v[28:29], null, s9, v32, v[11:12]
	v_dual_mov_b32 v11, v39 :: v_dual_mov_b32 v34, v37
	v_add_co_ci_u32_e64 v41, s0, v43, v27, s0
	v_lshlrev_b64 v[26:27], 3, v[30:31]
	v_mad_u64_u32 v[29:30], null, s9, v44, v[11:12]
	v_mov_b32_e32 v36, v28
	v_lshlrev_b64 v[30:31], 3, v[33:34]
	s_delay_alu instid0(VALU_DEP_4) | instskip(NEXT) | instid1(VALU_DEP_1)
	v_add_co_u32 v32, s0, v42, v26
	v_add_co_ci_u32_e64 v33, s0, v43, v27, s0
	v_mov_b32_e32 v39, v29
	v_lshlrev_b64 v[26:27], 3, v[35:36]
	v_add_co_u32 v28, s0, v42, v30
	s_delay_alu instid0(VALU_DEP_1) | instskip(NEXT) | instid1(VALU_DEP_4)
	v_add_co_ci_u32_e64 v29, s0, v43, v31, s0
	v_lshlrev_b64 v[30:31], 3, v[38:39]
	s_delay_alu instid0(VALU_DEP_4) | instskip(NEXT) | instid1(VALU_DEP_1)
	v_add_co_u32 v36, s0, v42, v26
	v_add_co_ci_u32_e64 v37, s0, v43, v27, s0
	s_delay_alu instid0(VALU_DEP_3) | instskip(NEXT) | instid1(VALU_DEP_1)
	v_add_co_u32 v38, s0, v42, v30
	v_add_co_ci_u32_e64 v39, s0, v43, v31, s0
	s_clause 0x7
	global_load_b64 v[10:11], v[9:10], off
	global_load_b64 v[26:27], v[22:23], off
	;; [unrolled: 1-line block ×8, first 2 shown]
.LBB0_12:
	s_or_b32 exec_lo, exec_lo, s2
	v_mov_b32_e32 v39, v0
.LBB0_13:
	s_or_b32 exec_lo, exec_lo, s1
	s_waitcnt vmcnt(7)
	v_sub_f32_e32 v9, v1, v10
	s_waitcnt vmcnt(3)
	v_dual_sub_f32 v34, v3, v34 :: v_dual_sub_f32 v35, v4, v35
	v_dual_sub_f32 v10, v14, v30 :: v_dual_sub_f32 v23, v8, v23
	v_sub_f32_e32 v30, v15, v31
	s_waitcnt vmcnt(0)
	v_dual_sub_f32 v36, v20, v32 :: v_dual_sub_f32 v25, v17, v25
	v_fma_f32 v31, v1, 2.0, -v9
	v_fma_f32 v3, v3, 2.0, -v34
	v_sub_f32_e32 v32, v21, v33
	v_fma_f32 v1, v15, 2.0, -v30
	v_fma_f32 v15, v20, 2.0, -v36
	s_delay_alu instid0(VALU_DEP_4)
	v_dual_sub_f32 v20, v12, v26 :: v_dual_sub_f32 v33, v31, v3
	v_fma_f32 v8, v8, 2.0, -v23
	v_fma_f32 v17, v17, 2.0, -v25
	v_dual_sub_f32 v26, v13, v27 :: v_dual_sub_f32 v27, v18, v28
	v_fma_f32 v14, v14, 2.0, -v10
	v_fma_f32 v21, v21, 2.0, -v32
	s_delay_alu instid0(VALU_DEP_4)
	v_sub_f32_e32 v17, v8, v17
	v_dual_sub_f32 v28, v19, v29 :: v_dual_sub_f32 v37, v9, v35
	v_fma_f32 v29, v12, 2.0, -v20
	v_fma_f32 v18, v18, 2.0, -v27
	v_dual_sub_f32 v22, v7, v22 :: v_dual_sub_f32 v3, v14, v15
	v_sub_f32_e32 v24, v16, v24
	v_dual_sub_f32 v12, v1, v21 :: v_dual_add_f32 v21, v26, v27
	s_delay_alu instid0(VALU_DEP_4) | instskip(NEXT) | instid1(VALU_DEP_4)
	v_sub_f32_e32 v15, v29, v18
	v_fma_f32 v7, v7, 2.0, -v22
	s_delay_alu instid0(VALU_DEP_4) | instskip(NEXT) | instid1(VALU_DEP_4)
	v_fma_f32 v16, v16, 2.0, -v24
	v_sub_f32_e32 v48, v33, v12
	v_fma_f32 v13, v13, 2.0, -v26
	v_sub_f32_e32 v44, v15, v17
	v_fma_f32 v19, v19, 2.0, -v28
	v_fma_f32 v31, v31, 2.0, -v33
	;; [unrolled: 1-line block ×5, first 2 shown]
	v_sub_f32_e32 v18, v20, v28
	v_sub_f32_e32 v16, v7, v16
	v_fma_f32 v9, v9, 2.0, -v37
	v_sub_f32_e32 v25, v22, v25
	v_fma_f32 v26, v26, 2.0, -v21
	v_fma_f32 v8, v8, 2.0, -v17
	;; [unrolled: 1-line block ×3, first 2 shown]
	v_sub_f32_e32 v32, v10, v32
	v_fma_f32 v22, v22, 2.0, -v25
	v_cmp_gt_u32_e64 s0, 0x80, v0
	s_delay_alu instid0(VALU_DEP_3)
	v_fma_f32 v41, v10, 2.0, -v32
	v_sub_f32_e32 v10, v13, v19
	v_fma_f32 v19, v29, 2.0, -v15
	v_fmamk_f32 v15, v50, 0xbf3504f3, v53
	v_fma_f32 v20, v20, 2.0, -v18
	v_fmamk_f32 v33, v25, 0x3f3504f3, v18
	v_dual_fmamk_f32 v42, v41, 0xbf3504f3, v9 :: v_dual_add_f32 v45, v10, v16
	v_dual_sub_f32 v27, v19, v7 :: v_dual_add_f32 v40, v30, v36
	v_dual_fmamk_f32 v47, v32, 0x3f3504f3, v37 :: v_dual_sub_f32 v46, v31, v14
	v_fma_f32 v13, v13, 2.0, -v10
	s_delay_alu instid0(VALU_DEP_3) | instskip(NEXT) | instid1(VALU_DEP_4)
	v_fma_f32 v7, v19, 2.0, -v27
	v_fma_f32 v43, v30, 2.0, -v40
	s_delay_alu instid0(VALU_DEP_4) | instskip(SKIP_4) | instid1(VALU_DEP_4)
	v_fmac_f32_e32 v47, 0xbf3504f3, v40
	v_fma_f32 v49, v31, 2.0, -v46
	v_add_f32_e32 v24, v23, v24
	v_fma_f32 v51, v10, 2.0, -v45
	v_dual_fmac_f32 v42, 0xbf3504f3, v43 :: v_dual_sub_f32 v29, v13, v8
	v_sub_f32_e32 v7, v49, v7
	s_delay_alu instid0(VALU_DEP_4) | instskip(SKIP_2) | instid1(VALU_DEP_3)
	v_fma_f32 v23, v23, 2.0, -v24
	v_dual_fmamk_f32 v36, v22, 0xbf3504f3, v20 :: v_dual_fmac_f32 v33, 0xbf3504f3, v24
	v_fmamk_f32 v28, v24, 0x3f3504f3, v21
	v_dual_fmac_f32 v15, 0xbf3504f3, v51 :: v_dual_fmamk_f32 v14, v23, 0xbf3504f3, v26
	v_sub_f32_e32 v17, v46, v29
	v_fmamk_f32 v19, v44, 0x3f3504f3, v48
	v_fmac_f32_e32 v36, 0xbf3504f3, v23
	v_fma_f32 v52, v9, 2.0, -v42
	v_fma_f32 v54, v37, 2.0, -v47
	v_fmac_f32_e32 v14, 0x3f3504f3, v22
	v_fmac_f32_e32 v19, 0xbf3504f3, v45
	v_fma_f32 v37, v20, 2.0, -v36
	v_fmac_f32_e32 v28, 0x3f3504f3, v25
	v_fma_f32 v38, v18, 2.0, -v33
	v_fma_f32 v31, v26, 2.0, -v14
	v_fmamk_f32 v18, v36, 0x3ec3ef15, v42
	v_fmamk_f32 v8, v37, 0xbf6c835e, v52
	v_fma_f32 v30, v21, 2.0, -v28
	v_fmamk_f32 v16, v38, 0xbec3ef15, v54
	v_fmamk_f32 v20, v33, 0x3f6c835e, v47
	v_fmac_f32_e32 v18, 0xbf6c835e, v14
	v_fmac_f32_e32 v8, 0xbec3ef15, v31
	v_fma_f32 v9, v49, 2.0, -v7
	v_fmac_f32_e32 v16, 0xbf6c835e, v30
	v_fmac_f32_e32 v20, 0xbec3ef15, v28
	v_fma_f32 v21, v53, 2.0, -v15
	v_fma_f32 v10, v52, 2.0, -v8
	;; [unrolled: 1-line block ×7, first 2 shown]
	v_lshl_add_u32 v42, v0, 6, 0
	s_and_saveexec_b32 s1, s0
	s_cbranch_execz .LBB0_15
; %bb.14:
	ds_store_2addr_b64 v42, v[9:10], v[21:22] offset1:1
	ds_store_2addr_b64 v42, v[23:24], v[25:26] offset0:2 offset1:3
	ds_store_2addr_b64 v42, v[7:8], v[15:16] offset0:4 offset1:5
	ds_store_2addr_b64 v42, v[17:18], v[19:20] offset0:6 offset1:7
.LBB0_15:
	s_or_b32 exec_lo, exec_lo, s1
	v_dual_mul_f32 v46, 0x3f3504f3, v41 :: v_dual_mul_f32 v47, 0x3f3504f3, v32
	v_dual_mul_f32 v48, 0x3f3504f3, v43 :: v_dual_mul_f32 v49, 0x3f3504f3, v40
	;; [unrolled: 1-line block ×4, first 2 shown]
	v_lshl_add_u32 v40, v0, 2, 0
	v_lshlrev_b32_e32 v41, 2, v0
	s_waitcnt lgkmcnt(0)
	s_barrier
	buffer_gl0_inv
	s_and_saveexec_b32 s1, s0
	s_cbranch_execz .LBB0_17
; %bb.16:
	v_add_nc_u32_e32 v7, 0, v41
	ds_load_2addr_stride64_b32 v[9:10], v40 offset1:2
	v_or_b32_e32 v8, 0xe00, v41
	ds_load_2addr_stride64_b32 v[21:22], v40 offset0:4 offset1:6
	ds_load_2addr_stride64_b32 v[23:24], v40 offset0:8 offset1:10
	;; [unrolled: 1-line block ×3, first 2 shown]
	v_or_b32_e32 v15, 0x1e00, v41
	v_add_nc_u32_e32 v19, 0, v8
	s_waitcnt lgkmcnt(0)
	s_delay_alu instid0(VALU_DEP_2)
	v_dual_mov_b32 v25, v50 :: v_dual_add_nc_u32 v20, 0, v15
	ds_load_2addr_stride64_b32 v[7:8], v40 offset0:16 offset1:18
	ds_load_2addr_stride64_b32 v[15:16], v40 offset0:20 offset1:22
	;; [unrolled: 1-line block ×3, first 2 shown]
	ds_load_b32 v26, v19
	ds_load_b32 v20, v20
	v_mov_b32_e32 v19, v51
.LBB0_17:
	s_or_b32 exec_lo, exec_lo, s1
	v_sub_f32_e32 v11, v2, v11
	v_fma_f32 v4, v4, 2.0, -v35
	v_fma_f32 v1, v1, 2.0, -v12
	;; [unrolled: 1-line block ×3, first 2 shown]
	s_waitcnt lgkmcnt(0)
	v_add_f32_e32 v34, v11, v34
	s_barrier
	buffer_gl0_inv
	v_add_f32_e32 v35, v34, v49
	s_delay_alu instid0(VALU_DEP_1) | instskip(NEXT) | instid1(VALU_DEP_1)
	v_add_f32_e32 v47, v47, v35
	v_fmamk_f32 v28, v28, 0x3f6c835e, v47
	v_fma_f32 v2, v2, 2.0, -v11
	s_delay_alu instid0(VALU_DEP_2) | instskip(NEXT) | instid1(VALU_DEP_2)
	v_fmac_f32_e32 v28, 0x3ec3ef15, v33
	v_sub_f32_e32 v4, v2, v4
	s_delay_alu instid0(VALU_DEP_1) | instskip(SKIP_1) | instid1(VALU_DEP_2)
	v_add_f32_e32 v3, v4, v3
	v_fma_f32 v11, v11, 2.0, -v34
	v_add_f32_e32 v35, v3, v45
	s_delay_alu instid0(VALU_DEP_2) | instskip(SKIP_2) | instid1(VALU_DEP_3)
	v_sub_f32_e32 v12, v11, v48
	v_fma_f32 v2, v2, 2.0, -v4
	v_fma_f32 v4, v4, 2.0, -v3
	v_add_f32_e32 v12, v46, v12
	v_fma_f32 v34, v34, 2.0, -v47
	s_delay_alu instid0(VALU_DEP_2) | instskip(SKIP_1) | instid1(VALU_DEP_3)
	v_fma_f32 v45, v11, 2.0, -v12
	v_sub_f32_e32 v1, v2, v1
	v_dual_sub_f32 v11, v4, v32 :: v_dual_fmamk_f32 v32, v30, 0xbec3ef15, v34
	v_fmamk_f32 v30, v14, 0x3ec3ef15, v12
	s_delay_alu instid0(VALU_DEP_4) | instskip(NEXT) | instid1(VALU_DEP_4)
	v_fmamk_f32 v14, v31, 0xbf6c835e, v45
	v_fma_f32 v2, v2, 2.0, -v1
	v_add_f32_e32 v29, v1, v27
	v_add_f32_e32 v27, v44, v35
	v_dual_add_f32 v31, v43, v11 :: v_dual_fmac_f32 v30, 0x3f6c835e, v36
	s_delay_alu instid0(VALU_DEP_4) | instskip(SKIP_3) | instid1(VALU_DEP_4)
	v_dual_sub_f32 v13, v2, v13 :: v_dual_fmac_f32 v32, 0x3f6c835e, v38
	v_fmac_f32_e32 v14, 0x3ec3ef15, v37
	v_fma_f32 v33, v1, 2.0, -v29
	v_fma_f32 v35, v3, 2.0, -v27
	;; [unrolled: 1-line block ×8, first 2 shown]
	s_and_saveexec_b32 s1, s0
	s_cbranch_execz .LBB0_19
; %bb.18:
	ds_store_2addr_b64 v42, v[11:12], v[37:38] offset1:1
	ds_store_2addr_b64 v42, v[33:34], v[35:36] offset0:2 offset1:3
	ds_store_2addr_b64 v42, v[13:14], v[31:32] offset0:4 offset1:5
	;; [unrolled: 1-line block ×3, first 2 shown]
.LBB0_19:
	s_or_b32 exec_lo, exec_lo, s1
	s_waitcnt lgkmcnt(0)
	s_barrier
	buffer_gl0_inv
	s_and_saveexec_b32 s1, s0
	s_cbranch_execz .LBB0_21
; %bb.20:
	v_add_nc_u32_e32 v1, 0, v41
	ds_load_2addr_stride64_b32 v[11:12], v40 offset1:2
	v_or_b32_e32 v3, 0xe00, v41
	ds_load_2addr_stride64_b32 v[37:38], v40 offset0:4 offset1:6
	ds_load_2addr_stride64_b32 v[33:34], v40 offset0:8 offset1:10
	;; [unrolled: 1-line block ×3, first 2 shown]
	v_or_b32_e32 v4, 0x1e00, v41
	v_add_nc_u32_e32 v3, 0, v3
	s_waitcnt lgkmcnt(0)
	s_delay_alu instid0(VALU_DEP_2)
	v_dual_mov_b32 v27, v2 :: v_dual_add_nc_u32 v4, 0, v4
	ds_load_2addr_stride64_b32 v[13:14], v40 offset0:16 offset1:18
	ds_load_2addr_stride64_b32 v[31:32], v40 offset0:20 offset1:22
	;; [unrolled: 1-line block ×3, first 2 shown]
	ds_load_b32 v36, v3
	ds_load_b32 v28, v4
	v_mov_b32_e32 v35, v1
.LBB0_21:
	s_or_b32 exec_lo, exec_lo, s1
	v_and_b32_e32 v41, 15, v0
	s_delay_alu instid0(VALU_DEP_1) | instskip(NEXT) | instid1(VALU_DEP_1)
	v_mul_u32_u24_e32 v1, 15, v41
	v_lshlrev_b32_e32 v42, 3, v1
	s_clause 0x7
	global_load_b128 v[43:46], v42, s[4:5]
	global_load_b128 v[47:50], v42, s[4:5] offset:16
	global_load_b128 v[51:54], v42, s[4:5] offset:32
	;; [unrolled: 1-line block ×6, first 2 shown]
	global_load_b64 v[67:68], v42, s[4:5] offset:112
	s_waitcnt vmcnt(0) lgkmcnt(0)
	s_barrier
	buffer_gl0_inv
	v_mul_f32_e32 v69, v12, v44
	v_dual_mul_f32 v44, v10, v44 :: v_dual_mul_f32 v73, v35, v54
	v_mul_f32_e32 v75, v26, v2
	v_mul_f32_e32 v76, v14, v56
	;; [unrolled: 1-line block ×6, first 2 shown]
	v_fmac_f32_e32 v44, v12, v43
	v_fmac_f32_e32 v56, v14, v55
	v_mul_f32_e32 v42, v23, v50
	v_dual_mul_f32 v50, v34, v52 :: v_dual_mul_f32 v79, v29, v62
	v_dual_mul_f32 v52, v24, v52 :: v_dual_mul_f32 v81, v27, v66
	v_mul_f32_e32 v82, v28, v68
	v_mul_f32_e32 v68, v20, v68
	v_fmac_f32_e32 v64, v30, v63
	s_delay_alu instid0(VALU_DEP_4)
	v_fmac_f32_e32 v52, v34, v51
	v_fma_f32 v69, v10, v43, -v69
	v_fma_f32 v10, v17, v61, -v79
	v_fmac_f32_e32 v68, v28, v67
	v_fmac_f32_e32 v75, v36, v1
	v_sub_f32_e32 v28, v52, v64
	v_mul_f32_e32 v62, v17, v62
	v_fma_f32 v17, v20, v67, -v82
	v_mul_f32_e32 v74, v36, v2
	v_fma_f32 v2, v23, v49, -v72
	v_fma_f32 v23, v24, v51, -v50
	v_mul_f32_e32 v54, v25, v54
	v_fma_f32 v24, v25, v53, -v73
	v_fma_f32 v25, v26, v1, -v74
	v_mul_f32_e32 v70, v37, v46
	v_dual_mul_f32 v46, v21, v46 :: v_dual_mul_f32 v71, v38, v48
	v_dual_mul_f32 v48, v22, v48 :: v_dual_mul_f32 v77, v31, v58
	s_delay_alu instid0(VALU_DEP_4) | instskip(SKIP_2) | instid1(VALU_DEP_4)
	v_sub_f32_e32 v17, v25, v17
	v_fma_f32 v1, v8, v55, -v76
	v_fma_f32 v21, v21, v45, -v70
	v_fmac_f32_e32 v48, v38, v47
	v_fma_f32 v8, v15, v57, -v77
	v_fma_f32 v25, v25, 2.0, -v17
	v_mul_f32_e32 v66, v19, v66
	v_fma_f32 v22, v22, v47, -v71
	v_sub_f32_e32 v26, v69, v1
	v_sub_f32_e32 v8, v21, v8
	;; [unrolled: 1-line block ×3, first 2 shown]
	v_dual_fmac_f32 v66, v27, v65 :: v_dual_sub_f32 v27, v44, v56
	v_mul_f32_e32 v78, v32, v60
	v_mul_f32_e32 v60, v16, v60
	v_fmac_f32_e32 v42, v33, v49
	v_fma_f32 v1, v21, 2.0, -v8
	v_fma_f32 v33, v52, 2.0, -v28
	s_delay_alu instid0(VALU_DEP_4) | instskip(SKIP_4) | instid1(VALU_DEP_4)
	v_dual_sub_f32 v43, v26, v28 :: v_dual_fmac_f32 v60, v32, v59
	v_mul_f32_e32 v58, v15, v58
	v_fma_f32 v15, v18, v63, -v80
	v_fmac_f32_e32 v62, v29, v61
	v_fma_f32 v32, v44, 2.0, -v27
	v_dual_sub_f32 v29, v48, v60 :: v_dual_fmac_f32 v58, v31, v57
	s_delay_alu instid0(VALU_DEP_4)
	v_sub_f32_e32 v15, v23, v15
	v_fmac_f32_e32 v54, v35, v53
	v_fma_f32 v31, v69, 2.0, -v26
	v_fma_f32 v35, v75, 2.0, -v30
	v_add_f32_e32 v17, v29, v17
	v_fma_f32 v23, v23, 2.0, -v15
	v_add_f32_e32 v15, v27, v15
	v_fma_f32 v14, v16, v59, -v78
	v_fma_f32 v16, v19, v65, -v81
	v_dual_sub_f32 v18, v54, v66 :: v_dual_sub_f32 v33, v32, v33
	v_fma_f32 v26, v26, 2.0, -v43
	s_delay_alu instid0(VALU_DEP_4) | instskip(NEXT) | instid1(VALU_DEP_4)
	v_sub_f32_e32 v14, v22, v14
	v_sub_f32_e32 v16, v24, v16
	v_fma_f32 v47, v29, 2.0, -v17
	v_fma_f32 v38, v32, 2.0, -v33
	v_sub_f32_e32 v10, v2, v10
	v_sub_f32_e32 v28, v14, v30
	v_fmac_f32_e32 v46, v37, v45
	v_fma_f32 v21, v24, 2.0, -v16
	v_fma_f32 v24, v54, 2.0, -v18
	v_sub_f32_e32 v37, v8, v18
	v_fma_f32 v22, v22, 2.0, -v14
	s_delay_alu instid0(VALU_DEP_4) | instskip(SKIP_3) | instid1(VALU_DEP_3)
	v_dual_sub_f32 v45, v31, v23 :: v_dual_sub_f32 v18, v1, v21
	v_dual_fmamk_f32 v21, v28, 0x3f3504f3, v43 :: v_dual_sub_f32 v20, v46, v58
	v_fma_f32 v14, v14, 2.0, -v28
	v_fmamk_f32 v23, v17, 0x3f3504f3, v15
	v_fmac_f32_e32 v21, 0xbf3504f3, v17
	s_delay_alu instid0(VALU_DEP_4)
	v_fma_f32 v19, v46, 2.0, -v20
	v_add_f32_e32 v16, v20, v16
	v_fma_f32 v46, v27, 2.0, -v15
	v_sub_f32_e32 v27, v22, v25
	v_fmac_f32_e32 v23, 0x3f3504f3, v28
	v_sub_f32_e32 v34, v19, v24
	v_fma_f32 v24, v8, 2.0, -v37
	v_fma_f32 v30, v20, 2.0, -v16
	;; [unrolled: 1-line block ×3, first 2 shown]
	v_add_f32_e32 v32, v33, v27
	s_delay_alu instid0(VALU_DEP_4) | instskip(SKIP_4) | instid1(VALU_DEP_4)
	v_dual_sub_f32 v12, v42, v62 :: v_dual_mul_f32 v25, 0x3f3504f3, v24
	v_fma_f32 v36, v48, 2.0, -v29
	v_mul_f32_e32 v29, 0x3f3504f3, v30
	v_fmamk_f32 v24, v47, 0xbf3504f3, v46
	v_dual_mul_f32 v20, 0x3f3504f3, v37 :: v_dual_mul_f32 v37, 0x3f3504f3, v32
	v_dual_sub_f32 v44, v36, v35 :: v_dual_mul_f32 v35, 0x3f3504f3, v16
	v_fma_f32 v16, v22, 2.0, -v27
	v_fmamk_f32 v22, v14, 0xbf3504f3, v26
	v_fmac_f32_e32 v24, 0x3f3504f3, v14
	s_delay_alu instid0(VALU_DEP_4)
	v_sub_f32_e32 v30, v45, v44
	v_fma_f32 v31, v36, 2.0, -v44
	v_sub_f32_e32 v28, v8, v16
	v_fmac_f32_e32 v22, 0xbf3504f3, v47
	v_fma_f32 v16, v33, 2.0, -v32
	v_fma_f32 v14, v45, 2.0, -v30
	v_sub_f32_e32 v44, v38, v31
	v_fma_f32 v27, v43, 2.0, -v21
	v_fma_f32 v31, v15, 2.0, -v23
	v_mul_f32_e32 v33, 0x3f3504f3, v30
	v_fma_f32 v26, v26, 2.0, -v22
	v_fma_f32 v30, v46, 2.0, -v24
	v_mul_f32_e32 v32, 0x3f3504f3, v14
	v_mul_f32_e32 v36, 0x3f3504f3, v16
	v_lshlrev_b32_e32 v43, 4, v0
	s_and_saveexec_b32 s1, s0
	s_cbranch_execz .LBB0_23
; %bb.22:
	v_mul_f32_e32 v14, v13, v4
	v_fma_f32 v2, v2, 2.0, -v10
	v_fma_f32 v1, v1, 2.0, -v18
	;; [unrolled: 1-line block ×3, first 2 shown]
	v_and_or_b32 v17, 0x700, v43, v41
	v_fma_f32 v14, v7, v3, -v14
	s_delay_alu instid0(VALU_DEP_2) | instskip(NEXT) | instid1(VALU_DEP_2)
	v_lshl_add_u32 v17, v17, 2, 0
	v_sub_f32_e32 v14, v9, v14
	s_delay_alu instid0(VALU_DEP_1) | instskip(NEXT) | instid1(VALU_DEP_1)
	v_sub_f32_e32 v15, v14, v12
	v_add_f32_e32 v16, v15, v20
	s_delay_alu instid0(VALU_DEP_1) | instskip(NEXT) | instid1(VALU_DEP_1)
	v_sub_f32_e32 v16, v16, v35
	v_fmamk_f32 v47, v21, 0x3f6c835e, v16
	s_delay_alu instid0(VALU_DEP_1) | instskip(SKIP_1) | instid1(VALU_DEP_1)
	v_fmac_f32_e32 v47, 0xbec3ef15, v23
	v_fma_f32 v9, v9, 2.0, -v14
	v_sub_f32_e32 v2, v9, v2
	v_fma_f32 v14, v14, 2.0, -v15
	s_delay_alu instid0(VALU_DEP_2) | instskip(NEXT) | instid1(VALU_DEP_2)
	v_sub_f32_e32 v45, v2, v34
	v_sub_f32_e32 v46, v14, v25
	v_fma_f32 v9, v9, 2.0, -v2
	s_delay_alu instid0(VALU_DEP_3) | instskip(NEXT) | instid1(VALU_DEP_3)
	v_fma_f32 v2, v2, 2.0, -v45
	v_sub_f32_e32 v46, v46, v29
	s_delay_alu instid0(VALU_DEP_3) | instskip(NEXT) | instid1(VALU_DEP_2)
	v_sub_f32_e32 v1, v9, v1
	v_fmamk_f32 v49, v22, 0x3ec3ef15, v46
	v_fma_f32 v15, v15, 2.0, -v16
	v_fma_f32 v14, v14, 2.0, -v46
	v_add_f32_e32 v48, v45, v33
	v_sub_f32_e32 v50, v1, v44
	v_fma_f32 v9, v9, 2.0, -v1
	v_fmamk_f32 v51, v27, 0xbec3ef15, v15
	v_fmamk_f32 v53, v26, 0xbf6c835e, v14
	v_sub_f32_e32 v52, v2, v32
	v_dual_fmac_f32 v49, 0xbf6c835e, v24 :: v_dual_sub_f32 v48, v48, v37
	s_delay_alu instid0(VALU_DEP_4) | instskip(NEXT) | instid1(VALU_DEP_3)
	v_fmac_f32_e32 v51, 0xbf6c835e, v31
	v_dual_fmac_f32 v53, 0xbec3ef15, v30 :: v_dual_sub_f32 v52, v52, v36
	v_sub_f32_e32 v8, v9, v8
	v_fma_f32 v16, v16, 2.0, -v47
	v_fma_f32 v45, v45, 2.0, -v48
	v_fma_f32 v15, v15, 2.0, -v51
	v_fma_f32 v2, v2, 2.0, -v52
	v_fma_f32 v1, v1, 2.0, -v50
	v_fma_f32 v46, v46, 2.0, -v49
	v_fma_f32 v9, v9, 2.0, -v8
	v_fma_f32 v14, v14, 2.0, -v53
	ds_store_2addr_b32 v17, v45, v16 offset0:96 offset1:112
	ds_store_2addr_b32 v17, v52, v51 offset0:160 offset1:176
	ds_store_2addr_b32 v17, v50, v49 offset0:192 offset1:208
	ds_store_2addr_b32 v17, v2, v15 offset0:32 offset1:48
	ds_store_2addr_b32 v17, v1, v46 offset0:64 offset1:80
	ds_store_2addr_b32 v17, v8, v53 offset0:128 offset1:144
	ds_store_2addr_b32 v17, v9, v14 offset1:16
	ds_store_2addr_b32 v17, v48, v47 offset0:224 offset1:240
.LBB0_23:
	s_or_b32 exec_lo, exec_lo, s1
	s_waitcnt lgkmcnt(0)
	s_barrier
	buffer_gl0_inv
	ds_load_2addr_stride64_b32 v[1:2], v40 offset1:4
	ds_load_2addr_stride64_b32 v[14:15], v40 offset0:8 offset1:12
	ds_load_2addr_stride64_b32 v[8:9], v40 offset0:16 offset1:20
	;; [unrolled: 1-line block ×3, first 2 shown]
	s_waitcnt lgkmcnt(0)
	s_barrier
	buffer_gl0_inv
	s_and_saveexec_b32 s1, s0
	s_cbranch_execz .LBB0_25
; %bb.24:
	v_mul_f32_e32 v4, v7, v4
	s_delay_alu instid0(VALU_DEP_1) | instskip(NEXT) | instid1(VALU_DEP_1)
	v_fmac_f32_e32 v4, v13, v3
	v_sub_f32_e32 v3, v11, v4
	v_fma_f32 v4, v42, 2.0, -v12
	v_fma_f32 v12, v38, 2.0, -v44
	s_delay_alu instid0(VALU_DEP_3) | instskip(SKIP_2) | instid1(VALU_DEP_3)
	v_fma_f32 v7, v11, 2.0, -v3
	v_fma_f32 v11, v19, 2.0, -v34
	v_and_or_b32 v19, 0x700, v43, v41
	v_sub_f32_e32 v4, v7, v4
	s_delay_alu instid0(VALU_DEP_2) | instskip(NEXT) | instid1(VALU_DEP_2)
	v_lshl_add_u32 v19, v19, 2, 0
	v_add_f32_e32 v18, v4, v18
	v_add_f32_e32 v10, v3, v10
	s_delay_alu instid0(VALU_DEP_1) | instskip(NEXT) | instid1(VALU_DEP_1)
	v_add_f32_e32 v13, v10, v35
	v_add_f32_e32 v13, v20, v13
	v_fma_f32 v3, v3, 2.0, -v10
	s_delay_alu instid0(VALU_DEP_2) | instskip(NEXT) | instid1(VALU_DEP_2)
	v_fma_f32 v10, v10, 2.0, -v13
	v_sub_f32_e32 v29, v3, v29
	v_fmamk_f32 v23, v23, 0x3f6c835e, v13
	s_delay_alu instid0(VALU_DEP_2) | instskip(SKIP_3) | instid1(VALU_DEP_4)
	v_dual_fmamk_f32 v31, v31, 0xbec3ef15, v10 :: v_dual_add_f32 v20, v25, v29
	v_add_f32_e32 v25, v18, v37
	v_fma_f32 v7, v7, 2.0, -v4
	v_fma_f32 v4, v4, 2.0, -v18
	v_fmac_f32_e32 v31, 0x3f6c835e, v27
	v_fma_f32 v3, v3, 2.0, -v20
	s_delay_alu instid0(VALU_DEP_4) | instskip(NEXT) | instid1(VALU_DEP_4)
	v_dual_fmamk_f32 v24, v24, 0x3ec3ef15, v20 :: v_dual_sub_f32 v11, v7, v11
	v_sub_f32_e32 v29, v4, v36
	v_add_f32_e32 v25, v33, v25
	v_fma_f32 v10, v10, 2.0, -v31
	s_delay_alu instid0(VALU_DEP_4) | instskip(SKIP_3) | instid1(VALU_DEP_3)
	v_fmac_f32_e32 v24, 0x3f6c835e, v22
	v_fma_f32 v7, v7, 2.0, -v11
	v_fmac_f32_e32 v23, 0x3ec3ef15, v21
	v_dual_fmamk_f32 v21, v30, 0xbf6c835e, v3 :: v_dual_add_f32 v28, v11, v28
	v_dual_add_f32 v29, v32, v29 :: v_dual_sub_f32 v12, v7, v12
	v_fma_f32 v18, v18, 2.0, -v25
	s_delay_alu instid0(VALU_DEP_3) | instskip(SKIP_1) | instid1(VALU_DEP_4)
	v_fmac_f32_e32 v21, 0x3ec3ef15, v26
	v_fma_f32 v13, v13, 2.0, -v23
	v_fma_f32 v4, v4, 2.0, -v29
	;; [unrolled: 1-line block ×6, first 2 shown]
	ds_store_2addr_b32 v19, v18, v13 offset0:96 offset1:112
	ds_store_2addr_b32 v19, v29, v31 offset0:160 offset1:176
	;; [unrolled: 1-line block ×6, first 2 shown]
	ds_store_2addr_b32 v19, v7, v3 offset1:16
	ds_store_2addr_b32 v19, v25, v23 offset0:224 offset1:240
.LBB0_25:
	s_or_b32 exec_lo, exec_lo, s1
	s_waitcnt lgkmcnt(0)
	s_barrier
	buffer_gl0_inv
	s_and_saveexec_b32 s0, vcc_lo
	s_cbranch_execz .LBB0_27
; %bb.26:
	v_or_b32_e32 v55, 0x300, v39
	v_mul_u32_u24_e32 v0, 7, v0
	v_mad_u64_u32 v[34:35], null, s8, v39, 0
	v_or_b32_e32 v53, 0x100, v39
	s_delay_alu instid0(VALU_DEP_4) | instskip(NEXT) | instid1(VALU_DEP_4)
	v_mad_u64_u32 v[42:43], null, s8, v55, 0
	v_lshlrev_b32_e32 v0, 3, v0
	v_or_b32_e32 v56, 0x400, v39
	v_lshlrev_b64 v[5:6], 3, v[5:6]
	v_or_b32_e32 v54, 0x200, v39
	v_or_b32_e32 v57, 0x500, v39
	;; [unrolled: 1-line block ×3, first 2 shown]
	v_mov_b32_e32 v7, v43
	s_clause 0x3
	global_load_b128 v[10:13], v0, s[4:5] offset:1920
	global_load_b128 v[18:21], v0, s[4:5] offset:1952
	global_load_b128 v[22:25], v0, s[4:5] offset:1936
	global_load_b64 v[3:4], v0, s[4:5] offset:1968
	v_mad_u64_u32 v[36:37], null, s8, v53, 0
	v_mad_u64_u32 v[44:45], null, s8, v56, 0
	v_or_b32_e32 v58, 0x600, v39
	v_mov_b32_e32 v0, v35
	ds_load_2addr_stride64_b32 v[26:27], v40 offset0:8 offset1:12
	ds_load_2addr_stride64_b32 v[28:29], v40 offset0:24 offset1:28
	ds_load_2addr_stride64_b32 v[30:31], v40 offset1:4
	ds_load_2addr_stride64_b32 v[32:33], v40 offset0:16 offset1:20
	v_mad_u64_u32 v[40:41], null, s8, v54, 0
	v_mad_u64_u32 v[46:47], null, s8, v57, 0
	v_mov_b32_e32 v35, v45
	v_mad_u64_u32 v[50:51], null, s8, v59, 0
	v_add_co_u32 v60, vcc_lo, s10, v5
	v_mad_u64_u32 v[48:49], null, s8, v58, 0
	v_add_co_ci_u32_e32 v61, vcc_lo, s11, v6, vcc_lo
	v_mad_u64_u32 v[5:6], null, s9, v39, v[0:1]
	v_dual_mov_b32 v0, v37 :: v_dual_mov_b32 v37, v47
	v_dual_mov_b32 v6, v41 :: v_dual_mov_b32 v39, v51
	s_delay_alu instid0(VALU_DEP_2) | instskip(SKIP_1) | instid1(VALU_DEP_3)
	v_mad_u64_u32 v[51:52], null, s9, v53, v[0:1]
	v_mov_b32_e32 v38, v49
	v_mad_u64_u32 v[52:53], null, s9, v54, v[6:7]
	v_mad_u64_u32 v[53:54], null, s9, v55, v[7:8]
	s_delay_alu instid0(VALU_DEP_3)
	v_mad_u64_u32 v[54:55], null, s9, v57, v[37:38]
	v_mov_b32_e32 v37, v51
	v_mad_u64_u32 v[6:7], null, s9, v56, v[35:36]
	v_mad_u64_u32 v[55:56], null, s9, v58, v[38:39]
	;; [unrolled: 1-line block ×3, first 2 shown]
	v_mov_b32_e32 v41, v52
	v_mov_b32_e32 v43, v53
	;; [unrolled: 1-line block ×6, first 2 shown]
	v_lshlrev_b64 v[5:6], 3, v[36:37]
	v_lshlrev_b64 v[38:39], 3, v[42:43]
	s_waitcnt vmcnt(3) lgkmcnt(3)
	v_mul_f32_e32 v0, v26, v13
	v_mul_f32_e32 v13, v14, v13
	v_lshlrev_b64 v[34:35], 3, v[34:35]
	s_waitcnt vmcnt(0)
	v_dual_mul_f32 v52, v17, v4 :: v_dual_mov_b32 v51, v56
	s_waitcnt lgkmcnt(2)
	v_mul_f32_e32 v4, v29, v4
	v_lshlrev_b64 v[42:43], 3, v[46:47]
	v_fma_f32 v0, v14, v12, -v0
	v_fmac_f32_e32 v52, v29, v3
	v_lshlrev_b64 v[46:47], 3, v[50:51]
	s_waitcnt lgkmcnt(0)
	v_mul_f32_e32 v50, v33, v19
	v_lshlrev_b64 v[36:37], 3, v[40:41]
	v_lshlrev_b64 v[40:41], 3, v[44:45]
	v_lshlrev_b64 v[44:45], 3, v[48:49]
	v_mul_f32_e32 v48, v8, v25
	v_mul_f32_e32 v25, v32, v25
	v_fma_f32 v3, v17, v3, -v4
	v_mul_f32_e32 v49, v31, v11
	v_fmac_f32_e32 v13, v12, v26
	v_fmac_f32_e32 v48, v32, v24
	v_mul_f32_e32 v7, v28, v21
	v_fma_f32 v4, v8, v24, -v25
	v_mul_f32_e32 v51, v15, v23
	v_fma_f32 v14, v2, v10, -v49
	v_sub_f32_e32 v8, v30, v48
	v_fma_f32 v7, v16, v20, -v7
	s_delay_alu instid0(VALU_DEP_4) | instskip(SKIP_2) | instid1(VALU_DEP_4)
	v_dual_sub_f32 v4, v1, v4 :: v_dual_fmac_f32 v51, v27, v22
	v_mul_f32_e32 v11, v2, v11
	v_fma_f32 v2, v9, v18, -v50
	v_sub_f32_e32 v7, v0, v7
	s_delay_alu instid0(VALU_DEP_4) | instskip(SKIP_2) | instid1(VALU_DEP_3)
	v_dual_mul_f32 v19, v9, v19 :: v_dual_sub_f32 v12, v51, v52
	v_mul_f32_e32 v21, v16, v21
	v_add_co_u32 v34, vcc_lo, v60, v34
	v_dual_fmac_f32 v19, v18, v33 :: v_dual_add_f32 v18, v7, v8
	v_fma_f32 v7, v0, 2.0, -v7
	v_add_co_ci_u32_e32 v35, vcc_lo, v61, v35, vcc_lo
	v_add_co_u32 v5, vcc_lo, v60, v5
	s_delay_alu instid0(VALU_DEP_4) | instskip(SKIP_4) | instid1(VALU_DEP_3)
	v_fma_f32 v24, v8, 2.0, -v18
	v_fmac_f32_e32 v11, v10, v31
	v_sub_f32_e32 v10, v14, v2
	v_add_co_ci_u32_e32 v6, vcc_lo, v61, v6, vcc_lo
	v_add_co_u32 v36, vcc_lo, v60, v36
	v_dual_sub_f32 v16, v11, v19 :: v_dual_sub_f32 v19, v10, v12
	v_fma_f32 v12, v51, 2.0, -v12
	v_fma_f32 v14, v14, 2.0, -v10
	v_add_co_ci_u32_e32 v37, vcc_lo, v61, v37, vcc_lo
	s_delay_alu instid0(VALU_DEP_4) | instskip(SKIP_3) | instid1(VALU_DEP_4)
	v_fma_f32 v11, v11, 2.0, -v16
	v_fma_f32 v25, v10, 2.0, -v19
	v_add_co_u32 v38, vcc_lo, v60, v38
	v_add_co_ci_u32_e32 v39, vcc_lo, v61, v39, vcc_lo
	v_sub_f32_e32 v12, v11, v12
	v_fmac_f32_e32 v21, v20, v28
	v_add_co_u32 v40, vcc_lo, v60, v40
	v_add_co_ci_u32_e32 v41, vcc_lo, v61, v41, vcc_lo
	s_delay_alu instid0(VALU_DEP_3) | instskip(SKIP_2) | instid1(VALU_DEP_3)
	v_sub_f32_e32 v17, v13, v21
	v_add_co_u32 v42, vcc_lo, v60, v42
	v_add_co_ci_u32_e32 v43, vcc_lo, v61, v43, vcc_lo
	v_sub_f32_e32 v21, v4, v17
	v_add_co_u32 v2, vcc_lo, v60, v44
	s_delay_alu instid0(VALU_DEP_2) | instskip(SKIP_1) | instid1(VALU_DEP_1)
	v_fmamk_f32 v0, v19, 0x3f3504f3, v21
	v_mul_f32_e32 v23, v27, v23
	v_fma_f32 v9, v15, v22, -v23
	v_fma_f32 v22, v30, 2.0, -v8
	s_delay_alu instid0(VALU_DEP_2) | instskip(SKIP_1) | instid1(VALU_DEP_2)
	v_sub_f32_e32 v15, v9, v3
	v_add_co_ci_u32_e32 v3, vcc_lo, v61, v45, vcc_lo
	v_add_f32_e32 v20, v16, v15
	v_fma_f32 v9, v9, 2.0, -v15
	v_fma_f32 v15, v1, 2.0, -v4
	;; [unrolled: 1-line block ×3, first 2 shown]
	s_delay_alu instid0(VALU_DEP_4) | instskip(SKIP_1) | instid1(VALU_DEP_4)
	v_fma_f32 v16, v16, 2.0, -v20
	v_fmamk_f32 v1, v20, 0x3f3504f3, v18
	v_dual_sub_f32 v23, v15, v7 :: v_dual_fmac_f32 v0, 0xbf3504f3, v20
	v_fma_f32 v20, v11, 2.0, -v12
	s_delay_alu instid0(VALU_DEP_4) | instskip(NEXT) | instid1(VALU_DEP_4)
	v_fmamk_f32 v10, v16, 0xbf3504f3, v24
	v_fmac_f32_e32 v1, 0x3f3504f3, v19
	s_delay_alu instid0(VALU_DEP_4)
	v_sub_f32_e32 v7, v23, v12
	v_fma_f32 v11, v21, 2.0, -v0
	v_add_co_u32 v21, vcc_lo, v60, v46
	v_fmac_f32_e32 v10, 0x3f3504f3, v25
	v_fma_f32 v13, v13, 2.0, -v17
	v_sub_f32_e32 v17, v14, v9
	v_fmamk_f32 v9, v25, 0xbf3504f3, v4
	v_fma_f32 v12, v18, 2.0, -v1
	v_fma_f32 v18, v24, 2.0, -v10
	v_sub_f32_e32 v13, v22, v13
	s_delay_alu instid0(VALU_DEP_4) | instskip(NEXT) | instid1(VALU_DEP_2)
	v_fmac_f32_e32 v9, 0xbf3504f3, v16
	v_fma_f32 v19, v22, 2.0, -v13
	v_fma_f32 v22, v15, 2.0, -v23
	;; [unrolled: 1-line block ×3, first 2 shown]
	v_add_f32_e32 v8, v13, v17
	v_fma_f32 v17, v4, 2.0, -v9
	s_delay_alu instid0(VALU_DEP_3) | instskip(NEXT) | instid1(VALU_DEP_3)
	v_dual_sub_f32 v16, v19, v20 :: v_dual_sub_f32 v15, v22, v15
	v_fma_f32 v14, v13, 2.0, -v8
	v_fma_f32 v13, v23, 2.0, -v7
	s_delay_alu instid0(VALU_DEP_3) | instskip(NEXT) | instid1(VALU_DEP_4)
	v_fma_f32 v20, v19, 2.0, -v16
	v_fma_f32 v19, v22, 2.0, -v15
	v_add_co_ci_u32_e32 v22, vcc_lo, v61, v47, vcc_lo
	s_clause 0x7
	global_store_b64 v[34:35], v[19:20], off
	global_store_b64 v[5:6], v[17:18], off
	;; [unrolled: 1-line block ×8, first 2 shown]
.LBB0_27:
	s_nop 0
	s_sendmsg sendmsg(MSG_DEALLOC_VGPRS)
	s_endpgm
	.section	.rodata,"a",@progbits
	.p2align	6, 0x0
	.amdhsa_kernel fft_rtc_fwd_len2048_factors_16_16_8_wgs_256_tpt_256_halfLds_sp_ip_CI_sbrr_dirReg
		.amdhsa_group_segment_fixed_size 0
		.amdhsa_private_segment_fixed_size 0
		.amdhsa_kernarg_size 88
		.amdhsa_user_sgpr_count 15
		.amdhsa_user_sgpr_dispatch_ptr 0
		.amdhsa_user_sgpr_queue_ptr 0
		.amdhsa_user_sgpr_kernarg_segment_ptr 1
		.amdhsa_user_sgpr_dispatch_id 0
		.amdhsa_user_sgpr_private_segment_size 0
		.amdhsa_wavefront_size32 1
		.amdhsa_uses_dynamic_stack 0
		.amdhsa_enable_private_segment 0
		.amdhsa_system_sgpr_workgroup_id_x 1
		.amdhsa_system_sgpr_workgroup_id_y 0
		.amdhsa_system_sgpr_workgroup_id_z 0
		.amdhsa_system_sgpr_workgroup_info 0
		.amdhsa_system_vgpr_workitem_id 0
		.amdhsa_next_free_vgpr 83
		.amdhsa_next_free_sgpr 23
		.amdhsa_reserve_vcc 1
		.amdhsa_float_round_mode_32 0
		.amdhsa_float_round_mode_16_64 0
		.amdhsa_float_denorm_mode_32 3
		.amdhsa_float_denorm_mode_16_64 3
		.amdhsa_dx10_clamp 1
		.amdhsa_ieee_mode 1
		.amdhsa_fp16_overflow 0
		.amdhsa_workgroup_processor_mode 1
		.amdhsa_memory_ordered 1
		.amdhsa_forward_progress 0
		.amdhsa_shared_vgpr_count 0
		.amdhsa_exception_fp_ieee_invalid_op 0
		.amdhsa_exception_fp_denorm_src 0
		.amdhsa_exception_fp_ieee_div_zero 0
		.amdhsa_exception_fp_ieee_overflow 0
		.amdhsa_exception_fp_ieee_underflow 0
		.amdhsa_exception_fp_ieee_inexact 0
		.amdhsa_exception_int_div_zero 0
	.end_amdhsa_kernel
	.text
.Lfunc_end0:
	.size	fft_rtc_fwd_len2048_factors_16_16_8_wgs_256_tpt_256_halfLds_sp_ip_CI_sbrr_dirReg, .Lfunc_end0-fft_rtc_fwd_len2048_factors_16_16_8_wgs_256_tpt_256_halfLds_sp_ip_CI_sbrr_dirReg
                                        ; -- End function
	.section	.AMDGPU.csdata,"",@progbits
; Kernel info:
; codeLenInByte = 7024
; NumSgprs: 25
; NumVgprs: 83
; ScratchSize: 0
; MemoryBound: 0
; FloatMode: 240
; IeeeMode: 1
; LDSByteSize: 0 bytes/workgroup (compile time only)
; SGPRBlocks: 3
; VGPRBlocks: 10
; NumSGPRsForWavesPerEU: 25
; NumVGPRsForWavesPerEU: 83
; Occupancy: 16
; WaveLimiterHint : 1
; COMPUTE_PGM_RSRC2:SCRATCH_EN: 0
; COMPUTE_PGM_RSRC2:USER_SGPR: 15
; COMPUTE_PGM_RSRC2:TRAP_HANDLER: 0
; COMPUTE_PGM_RSRC2:TGID_X_EN: 1
; COMPUTE_PGM_RSRC2:TGID_Y_EN: 0
; COMPUTE_PGM_RSRC2:TGID_Z_EN: 0
; COMPUTE_PGM_RSRC2:TIDIG_COMP_CNT: 0
	.text
	.p2alignl 7, 3214868480
	.fill 96, 4, 3214868480
	.type	__hip_cuid_ff6679fe986d028a,@object ; @__hip_cuid_ff6679fe986d028a
	.section	.bss,"aw",@nobits
	.globl	__hip_cuid_ff6679fe986d028a
__hip_cuid_ff6679fe986d028a:
	.byte	0                               ; 0x0
	.size	__hip_cuid_ff6679fe986d028a, 1

	.ident	"AMD clang version 19.0.0git (https://github.com/RadeonOpenCompute/llvm-project roc-6.4.0 25133 c7fe45cf4b819c5991fe208aaa96edf142730f1d)"
	.section	".note.GNU-stack","",@progbits
	.addrsig
	.addrsig_sym __hip_cuid_ff6679fe986d028a
	.amdgpu_metadata
---
amdhsa.kernels:
  - .args:
      - .actual_access:  read_only
        .address_space:  global
        .offset:         0
        .size:           8
        .value_kind:     global_buffer
      - .offset:         8
        .size:           8
        .value_kind:     by_value
      - .actual_access:  read_only
        .address_space:  global
        .offset:         16
        .size:           8
        .value_kind:     global_buffer
      - .actual_access:  read_only
        .address_space:  global
        .offset:         24
        .size:           8
        .value_kind:     global_buffer
      - .offset:         32
        .size:           8
        .value_kind:     by_value
      - .actual_access:  read_only
        .address_space:  global
        .offset:         40
        .size:           8
        .value_kind:     global_buffer
      - .actual_access:  read_only
        .address_space:  global
        .offset:         48
        .size:           8
        .value_kind:     global_buffer
      - .offset:         56
        .size:           4
        .value_kind:     by_value
      - .actual_access:  read_only
        .address_space:  global
        .offset:         64
        .size:           8
        .value_kind:     global_buffer
      - .actual_access:  read_only
        .address_space:  global
        .offset:         72
        .size:           8
        .value_kind:     global_buffer
      - .address_space:  global
        .offset:         80
        .size:           8
        .value_kind:     global_buffer
    .group_segment_fixed_size: 0
    .kernarg_segment_align: 8
    .kernarg_segment_size: 88
    .language:       OpenCL C
    .language_version:
      - 2
      - 0
    .max_flat_workgroup_size: 256
    .name:           fft_rtc_fwd_len2048_factors_16_16_8_wgs_256_tpt_256_halfLds_sp_ip_CI_sbrr_dirReg
    .private_segment_fixed_size: 0
    .sgpr_count:     25
    .sgpr_spill_count: 0
    .symbol:         fft_rtc_fwd_len2048_factors_16_16_8_wgs_256_tpt_256_halfLds_sp_ip_CI_sbrr_dirReg.kd
    .uniform_work_group_size: 1
    .uses_dynamic_stack: false
    .vgpr_count:     83
    .vgpr_spill_count: 0
    .wavefront_size: 32
    .workgroup_processor_mode: 1
amdhsa.target:   amdgcn-amd-amdhsa--gfx1100
amdhsa.version:
  - 1
  - 2
...

	.end_amdgpu_metadata
